;; amdgpu-corpus repo=ROCm/rocFFT kind=compiled arch=gfx950 opt=O3
	.text
	.amdgcn_target "amdgcn-amd-amdhsa--gfx950"
	.amdhsa_code_object_version 6
	.protected	fft_rtc_back_len52_factors_13_4_wgs_208_tpt_13_dp_ip_CI_sbcc_twdbase6_3step_dirReg ; -- Begin function fft_rtc_back_len52_factors_13_4_wgs_208_tpt_13_dp_ip_CI_sbcc_twdbase6_3step_dirReg
	.globl	fft_rtc_back_len52_factors_13_4_wgs_208_tpt_13_dp_ip_CI_sbcc_twdbase6_3step_dirReg
	.p2align	8
	.type	fft_rtc_back_len52_factors_13_4_wgs_208_tpt_13_dp_ip_CI_sbcc_twdbase6_3step_dirReg,@function
fft_rtc_back_len52_factors_13_4_wgs_208_tpt_13_dp_ip_CI_sbcc_twdbase6_3step_dirReg: ; @fft_rtc_back_len52_factors_13_4_wgs_208_tpt_13_dp_ip_CI_sbcc_twdbase6_3step_dirReg
; %bb.0:
	s_load_dwordx8 s[4:11], s[0:1], 0x8
	s_movk_i32 s3, 0xc0
	v_cmp_gt_u32_e32 vcc, s3, v0
	s_and_saveexec_b64 s[12:13], vcc
	s_cbranch_execz .LBB0_2
; %bb.1:
	v_lshlrev_b32_e32 v1, 4, v0
	s_waitcnt lgkmcnt(0)
	global_load_dwordx4 v[2:5], v1, s[4:5]
	v_add_u32_e32 v1, 0, v1
	v_add_u32_e32 v1, 0x3400, v1
	s_waitcnt vmcnt(0)
	ds_write2_b64 v1, v[2:3], v[4:5] offset1:1
.LBB0_2:
	s_or_b64 exec, exec, s[12:13]
	s_waitcnt lgkmcnt(0)
	s_load_dwordx2 s[18:19], s[8:9], 0x8
	s_mov_b32 s3, 0
	s_mov_b64 s[24:25], 0
	s_waitcnt lgkmcnt(0)
	s_add_u32 s4, s18, -1
	s_addc_u32 s5, s19, -1
	s_lshr_b64 s[4:5], s[4:5], 4
	s_add_u32 s22, s4, 1
	s_addc_u32 s23, s5, 0
	v_mov_b64_e32 v[2:3], s[22:23]
	v_cmp_lt_u64_e32 vcc, s[2:3], v[2:3]
	s_cbranch_vccnz .LBB0_4
; %bb.3:
	v_cvt_f32_u32_e32 v1, s22
	s_sub_i32 s4, 0, s22
	s_mov_b32 s25, s3
	v_rcp_iflag_f32_e32 v1, v1
	s_nop 0
	v_mul_f32_e32 v1, 0x4f7ffffe, v1
	v_cvt_u32_f32_e32 v1, v1
	s_nop 0
	v_readfirstlane_b32 s5, v1
	s_mul_i32 s4, s4, s5
	s_mul_hi_u32 s4, s5, s4
	s_add_i32 s5, s5, s4
	s_mul_hi_u32 s4, s2, s5
	s_mul_i32 s12, s4, s22
	s_sub_i32 s12, s2, s12
	s_add_i32 s5, s4, 1
	s_sub_i32 s13, s12, s22
	s_cmp_ge_u32 s12, s22
	s_cselect_b32 s4, s5, s4
	s_cselect_b32 s12, s13, s12
	s_add_i32 s5, s4, 1
	s_cmp_ge_u32 s12, s22
	s_cselect_b32 s24, s5, s4
.LBB0_4:
	s_load_dwordx2 s[16:17], s[0:1], 0x0
	s_load_dwordx4 s[12:15], s[10:11], 0x0
	s_mul_i32 s4, s24, s23
	s_mul_hi_u32 s5, s24, s22
	s_add_i32 s5, s5, s4
	s_mul_i32 s4, s24, s22
	s_sub_u32 s4, s2, s4
	s_subb_u32 s5, 0, s5
	v_mov_b32_e32 v1, s4
	s_lshl_b64 s[20:21], s[4:5], 4
	v_alignbit_b32 v1, s5, v1, 28
	s_waitcnt lgkmcnt(0)
	v_mul_lo_u32 v1, s14, v1
	s_mul_hi_u32 s4, s14, s20
	v_add_u32_e32 v1, s4, v1
	s_mul_i32 s4, s15, s20
	v_add_u32_e32 v3, s4, v1
	s_mul_i32 s4, s14, s20
	v_mov_b32_e32 v2, s4
	v_cmp_lt_u64_e64 s[4:5], s[6:7], 3
	s_and_b64 vcc, exec, s[4:5]
	s_cbranch_vccnz .LBB0_13
; %bb.5:
	s_add_u32 s26, s10, 16
	s_addc_u32 s27, s11, 0
	s_add_u32 s8, s8, 16
	s_addc_u32 s9, s9, 0
	s_mov_b64 s[28:29], 2
	s_mov_b32 s30, 0
	v_mov_b64_e32 v[4:5], s[6:7]
	s_branch .LBB0_7
.LBB0_6:                                ;   in Loop: Header=BB0_7 Depth=1
	s_mul_i32 s23, s34, s23
	s_mul_hi_u32 s31, s34, s22
	s_add_i32 s23, s31, s23
	s_mul_i32 s31, s35, s22
	s_add_i32 s23, s23, s31
	s_mul_i32 s31, s4, s35
	s_mul_hi_u32 s33, s4, s34
	s_load_dwordx2 s[36:37], s[26:27], 0x0
	s_add_i32 s31, s33, s31
	s_mul_i32 s33, s5, s34
	s_add_i32 s31, s31, s33
	s_mul_i32 s33, s4, s34
	s_sub_u32 s24, s24, s33
	s_subb_u32 s25, s25, s31
	s_waitcnt lgkmcnt(0)
	s_mul_i32 s25, s36, s25
	s_mul_hi_u32 s31, s36, s24
	s_add_i32 s25, s31, s25
	s_mul_i32 s31, s37, s24
	s_add_i32 s25, s25, s31
	s_add_u32 s28, s28, 1
	s_addc_u32 s29, s29, 0
	s_add_u32 s26, s26, 8
	s_addc_u32 s27, s27, 0
	s_mul_i32 s24, s36, s24
	s_add_u32 s8, s8, 8
	v_cmp_ge_u64_e32 vcc, s[28:29], v[4:5]
	s_mul_i32 s22, s34, s22
	v_lshl_add_u64 v[2:3], s[24:25], 0, v[2:3]
	s_addc_u32 s9, s9, 0
	s_mov_b64 s[24:25], s[4:5]
	s_cbranch_vccnz .LBB0_11
.LBB0_7:                                ; =>This Inner Loop Header: Depth=1
	s_load_dwordx2 s[34:35], s[8:9], 0x0
	s_waitcnt lgkmcnt(0)
	s_or_b64 s[4:5], s[24:25], s[34:35]
	s_mov_b32 s31, s5
	s_cmp_lg_u64 s[30:31], 0
	s_cbranch_scc0 .LBB0_9
; %bb.8:                                ;   in Loop: Header=BB0_7 Depth=1
	v_cvt_f32_u32_e32 v1, s34
	v_cvt_f32_u32_e32 v6, s35
	s_sub_u32 s4, 0, s34
	s_subb_u32 s5, 0, s35
	v_fmac_f32_e32 v1, 0x4f800000, v6
	v_rcp_f32_e32 v1, v1
	s_nop 0
	v_mul_f32_e32 v1, 0x5f7ffffc, v1
	v_mul_f32_e32 v6, 0x2f800000, v1
	v_trunc_f32_e32 v6, v6
	v_fmac_f32_e32 v1, 0xcf800000, v6
	v_cvt_u32_f32_e32 v6, v6
	v_cvt_u32_f32_e32 v1, v1
	v_readfirstlane_b32 s31, v6
	v_readfirstlane_b32 s33, v1
	s_mul_i32 s36, s4, s31
	s_mul_hi_u32 s38, s4, s33
	s_mul_i32 s37, s5, s33
	s_add_i32 s36, s38, s36
	s_mul_i32 s39, s4, s33
	s_add_i32 s36, s36, s37
	s_mul_hi_u32 s37, s33, s36
	s_mul_i32 s38, s33, s36
	s_mul_hi_u32 s33, s33, s39
	s_add_u32 s33, s33, s38
	s_addc_u32 s37, 0, s37
	s_mul_hi_u32 s40, s31, s39
	s_mul_i32 s39, s31, s39
	s_add_u32 s33, s33, s39
	s_mul_hi_u32 s38, s31, s36
	s_addc_u32 s33, s37, s40
	s_addc_u32 s37, s38, 0
	s_mul_i32 s36, s31, s36
	s_add_u32 s33, s33, s36
	s_addc_u32 s36, 0, s37
	v_add_co_u32_e32 v1, vcc, s33, v1
	s_cmp_lg_u64 vcc, 0
	s_addc_u32 s31, s31, s36
	v_readfirstlane_b32 s36, v1
	s_mul_i32 s33, s4, s31
	s_mul_hi_u32 s37, s4, s36
	s_add_i32 s33, s37, s33
	s_mul_i32 s5, s5, s36
	s_add_i32 s33, s33, s5
	s_mul_i32 s4, s4, s36
	s_mul_hi_u32 s37, s31, s4
	s_mul_i32 s38, s31, s4
	s_mul_i32 s40, s36, s33
	s_mul_hi_u32 s4, s36, s4
	s_mul_hi_u32 s39, s36, s33
	s_add_u32 s4, s4, s40
	s_addc_u32 s36, 0, s39
	s_add_u32 s4, s4, s38
	s_mul_hi_u32 s5, s31, s33
	s_addc_u32 s4, s36, s37
	s_addc_u32 s5, s5, 0
	s_mul_i32 s33, s31, s33
	s_add_u32 s4, s4, s33
	s_addc_u32 s5, 0, s5
	v_add_co_u32_e32 v1, vcc, s4, v1
	s_cmp_lg_u64 vcc, 0
	s_addc_u32 s4, s31, s5
	v_readfirstlane_b32 s33, v1
	s_mul_i32 s31, s24, s4
	s_mul_hi_u32 s36, s24, s33
	s_mul_hi_u32 s5, s24, s4
	s_add_u32 s31, s36, s31
	s_addc_u32 s5, 0, s5
	s_mul_hi_u32 s37, s25, s33
	s_mul_i32 s33, s25, s33
	s_add_u32 s31, s31, s33
	s_mul_hi_u32 s36, s25, s4
	s_addc_u32 s5, s5, s37
	s_addc_u32 s31, s36, 0
	s_mul_i32 s4, s25, s4
	s_add_u32 s33, s5, s4
	s_addc_u32 s31, 0, s31
	s_mul_i32 s4, s34, s31
	s_mul_hi_u32 s5, s34, s33
	s_add_i32 s4, s5, s4
	s_mul_i32 s5, s35, s33
	s_add_i32 s36, s4, s5
	s_mul_i32 s5, s34, s33
	v_mov_b32_e32 v1, s5
	s_sub_i32 s4, s25, s36
	v_sub_co_u32_e32 v1, vcc, s24, v1
	s_cmp_lg_u64 vcc, 0
	s_subb_u32 s37, s4, s35
	v_subrev_co_u32_e64 v6, s[4:5], s34, v1
	s_cmp_lg_u64 s[4:5], 0
	s_subb_u32 s4, s37, 0
	s_cmp_ge_u32 s4, s35
	v_readfirstlane_b32 s37, v6
	s_cselect_b32 s5, -1, 0
	s_cmp_ge_u32 s37, s34
	s_cselect_b32 s37, -1, 0
	s_cmp_eq_u32 s4, s35
	s_cselect_b32 s4, s37, s5
	s_add_u32 s5, s33, 1
	s_addc_u32 s37, s31, 0
	s_add_u32 s38, s33, 2
	s_addc_u32 s39, s31, 0
	s_cmp_lg_u32 s4, 0
	s_cselect_b32 s4, s38, s5
	s_cselect_b32 s5, s39, s37
	s_cmp_lg_u64 vcc, 0
	s_subb_u32 s36, s25, s36
	s_cmp_ge_u32 s36, s35
	v_readfirstlane_b32 s38, v1
	s_cselect_b32 s37, -1, 0
	s_cmp_ge_u32 s38, s34
	s_cselect_b32 s38, -1, 0
	s_cmp_eq_u32 s36, s35
	s_cselect_b32 s36, s38, s37
	s_cmp_lg_u32 s36, 0
	s_cselect_b32 s5, s5, s31
	s_cselect_b32 s4, s4, s33
	s_cbranch_execnz .LBB0_6
	s_branch .LBB0_10
.LBB0_9:                                ;   in Loop: Header=BB0_7 Depth=1
                                        ; implicit-def: $sgpr4_sgpr5
.LBB0_10:                               ;   in Loop: Header=BB0_7 Depth=1
	v_cvt_f32_u32_e32 v1, s34
	s_sub_i32 s4, 0, s34
	v_rcp_iflag_f32_e32 v1, v1
	s_nop 0
	v_mul_f32_e32 v1, 0x4f7ffffe, v1
	v_cvt_u32_f32_e32 v1, v1
	s_nop 0
	v_readfirstlane_b32 s5, v1
	s_mul_i32 s4, s4, s5
	s_mul_hi_u32 s4, s5, s4
	s_add_i32 s5, s5, s4
	s_mul_hi_u32 s4, s24, s5
	s_mul_i32 s31, s4, s34
	s_sub_i32 s31, s24, s31
	s_add_i32 s5, s4, 1
	s_sub_i32 s33, s31, s34
	s_cmp_ge_u32 s31, s34
	s_cselect_b32 s4, s5, s4
	s_cselect_b32 s31, s33, s31
	s_add_i32 s5, s4, 1
	s_cmp_ge_u32 s31, s34
	s_cselect_b32 s4, s5, s4
	s_mov_b32 s5, s30
	s_branch .LBB0_6
.LBB0_11:
	v_mov_b64_e32 v[4:5], s[22:23]
	v_cmp_lt_u64_e32 vcc, s[2:3], v[4:5]
	s_mov_b64 s[24:25], 0
	s_cbranch_vccnz .LBB0_13
; %bb.12:
	v_cvt_f32_u32_e32 v1, s22
	s_sub_i32 s3, 0, s22
	v_rcp_iflag_f32_e32 v1, v1
	s_nop 0
	v_mul_f32_e32 v1, 0x4f7ffffe, v1
	v_cvt_u32_f32_e32 v1, v1
	s_nop 0
	v_readfirstlane_b32 s4, v1
	s_mul_i32 s3, s3, s4
	s_mul_hi_u32 s3, s4, s3
	s_add_i32 s4, s4, s3
	s_mul_hi_u32 s3, s2, s4
	s_mul_i32 s5, s3, s22
	s_sub_i32 s2, s2, s5
	s_add_i32 s4, s3, 1
	s_sub_i32 s5, s2, s22
	s_cmp_ge_u32 s2, s22
	s_cselect_b32 s3, s4, s3
	s_cselect_b32 s2, s5, s2
	s_add_i32 s4, s3, 1
	s_cmp_ge_u32 s2, s22
	s_cselect_b32 s24, s4, s3
.LBB0_13:
	s_load_dwordx2 s[4:5], s[0:1], 0x58
	s_lshl_b64 s[0:1], s[6:7], 3
	s_add_u32 s0, s10, s0
	s_addc_u32 s1, s11, s1
	s_load_dwordx2 s[0:1], s[0:1], 0x0
	v_mov_b64_e32 v[4:5], s[18:19]
	v_lshrrev_b32_e32 v142, 4, v0
	v_and_b32_e32 v1, 15, v0
	v_or_b32_e32 v65, 4, v142
	s_waitcnt lgkmcnt(0)
	s_mul_i32 s1, s1, s24
	s_mul_hi_u32 s2, s0, s24
	s_mul_i32 s0, s0, s24
	s_add_i32 s1, s2, s1
	v_lshl_add_u64 v[2:3], s[0:1], 0, v[2:3]
	s_add_u32 s0, s20, 16
	s_addc_u32 s1, s21, 0
	v_cmp_le_u64_e32 vcc, s[0:1], v[4:5]
	v_cmp_gt_u32_e64 s[2:3], 64, v0
	s_and_b64 s[6:7], s[2:3], vcc
	v_lshlrev_b64 v[90:91], 4, v[2:3]
	v_or_b32_e32 v64, 8, v142
	v_or_b32_e32 v63, 12, v142
	;; [unrolled: 1-line block ×11, first 2 shown]
                                        ; implicit-def: $vgpr4_vgpr5
                                        ; implicit-def: $vgpr12_vgpr13
                                        ; implicit-def: $vgpr52_vgpr53
                                        ; implicit-def: $vgpr44_vgpr45
                                        ; implicit-def: $vgpr48_vgpr49
                                        ; implicit-def: $vgpr36_vgpr37
                                        ; implicit-def: $vgpr40_vgpr41
                                        ; implicit-def: $vgpr28_vgpr29
                                        ; implicit-def: $vgpr32_vgpr33
                                        ; implicit-def: $vgpr20_vgpr21
                                        ; implicit-def: $vgpr24_vgpr25
                                        ; implicit-def: $vgpr16_vgpr17
                                        ; implicit-def: $vgpr8_vgpr9
	s_and_saveexec_b64 s[0:1], s[6:7]
	s_cbranch_execz .LBB0_15
; %bb.14:
	v_mad_u64_u32 v[2:3], s[6:7], s14, v1, 0
	v_mov_b32_e32 v4, v3
	v_mad_u64_u32 v[4:5], s[6:7], s15, v1, v[4:5]
	v_mov_b32_e32 v3, v4
	;; [unrolled: 2-line block ×4, first 2 shown]
	v_lshl_add_u64 v[6:7], s[4:5], 0, v[90:91]
	v_lshl_add_u64 v[34:35], v[2:3], 4, v[6:7]
	v_mad_u64_u32 v[2:3], s[6:7], s12, v65, 0
	v_lshl_add_u64 v[10:11], v[4:5], 4, v[34:35]
	v_mov_b32_e32 v4, v3
	v_mad_u64_u32 v[4:5], s[6:7], s13, v65, v[4:5]
	v_mov_b32_e32 v3, v4
	v_lshl_add_u64 v[12:13], v[2:3], 4, v[34:35]
	global_load_dwordx4 v[6:9], v[10:11], off
	global_load_dwordx4 v[2:5], v[12:13], off
	v_mad_u64_u32 v[10:11], s[6:7], s12, v64, 0
	v_mov_b32_e32 v12, v11
	v_mad_u64_u32 v[12:13], s[6:7], s13, v64, v[12:13]
	v_mov_b32_e32 v11, v12
	v_lshl_add_u64 v[18:19], v[10:11], 4, v[34:35]
	v_mad_u64_u32 v[10:11], s[6:7], s12, v63, 0
	v_mov_b32_e32 v12, v11
	v_mad_u64_u32 v[12:13], s[6:7], s13, v63, v[12:13]
	v_mov_b32_e32 v11, v12
	v_lshl_add_u64 v[20:21], v[10:11], 4, v[34:35]
	global_load_dwordx4 v[10:13], v[18:19], off
	global_load_dwordx4 v[14:17], v[20:21], off
	v_mad_u64_u32 v[18:19], s[6:7], s12, v62, 0
	v_mov_b32_e32 v20, v19
	v_mad_u64_u32 v[20:21], s[6:7], s13, v62, v[20:21]
	v_mov_b32_e32 v19, v20
	v_lshl_add_u64 v[26:27], v[18:19], 4, v[34:35]
	v_mad_u64_u32 v[18:19], s[6:7], s12, v61, 0
	;; [unrolled: 12-line block ×3, first 2 shown]
	v_mov_b32_e32 v28, v27
	v_mad_u64_u32 v[28:29], s[6:7], s13, v59, v[28:29]
	v_mov_b32_e32 v27, v28
	v_mad_u64_u32 v[40:41], s[6:7], s12, v58, 0
	v_lshl_add_u64 v[38:39], v[26:27], 4, v[34:35]
	v_mov_b32_e32 v26, v41
	v_mad_u64_u32 v[26:27], s[6:7], s13, v58, v[26:27]
	v_mad_u64_u32 v[42:43], s[6:7], s12, v57, 0
	v_mov_b32_e32 v41, v26
	v_mov_b32_e32 v26, v43
	v_mad_u64_u32 v[26:27], s[6:7], s13, v57, v[26:27]
	v_mad_u64_u32 v[44:45], s[6:7], s12, v56, 0
	v_mov_b32_e32 v43, v26
	;; [unrolled: 4-line block ×4, first 2 shown]
	v_mov_b32_e32 v26, v49
	v_mad_u64_u32 v[26:27], s[6:7], s13, v54, v[26:27]
	v_mov_b32_e32 v49, v26
	v_lshl_add_u64 v[66:67], v[40:41], 4, v[34:35]
	global_load_dwordx4 v[30:33], v[36:37], off
	global_load_dwordx4 v[26:29], v[38:39], off
	v_lshl_add_u64 v[68:69], v[42:43], 4, v[34:35]
	v_lshl_add_u64 v[70:71], v[44:45], 4, v[34:35]
	;; [unrolled: 1-line block ×4, first 2 shown]
	global_load_dwordx4 v[38:41], v[66:67], off
	global_load_dwordx4 v[34:37], v[68:69], off
	;; [unrolled: 1-line block ×5, first 2 shown]
.LBB0_15:
	s_or_b64 exec, exec, s[0:1]
	v_mov_b32_e32 v93, s21
	v_or_b32_e32 v92, s20, v1
	v_cmp_gt_u64_e64 s[0:1], s[18:19], v[92:93]
	s_xor_b64 s[6:7], vcc, -1
	s_and_b64 s[8:9], s[2:3], s[0:1]
	s_and_b64 s[8:9], s[6:7], s[8:9]
	s_and_saveexec_b64 s[6:7], s[8:9]
	s_cbranch_execz .LBB0_17
; %bb.16:
	s_waitcnt vmcnt(11)
	v_mad_u64_u32 v[2:3], s[8:9], s14, v1, 0
	v_mov_b32_e32 v4, v3
	v_mad_u64_u32 v[4:5], s[8:9], s15, v1, v[4:5]
	v_mov_b32_e32 v3, v4
	;; [unrolled: 2-line block ×4, first 2 shown]
	v_lshl_add_u64 v[6:7], s[4:5], 0, v[90:91]
	s_waitcnt vmcnt(0)
	v_lshl_add_u64 v[50:51], v[2:3], 4, v[6:7]
	v_mad_u64_u32 v[2:3], s[8:9], s12, v65, 0
	v_lshl_add_u64 v[10:11], v[4:5], 4, v[50:51]
	v_mov_b32_e32 v4, v3
	v_mad_u64_u32 v[4:5], s[8:9], s13, v65, v[4:5]
	v_mov_b32_e32 v3, v4
	v_lshl_add_u64 v[12:13], v[2:3], 4, v[50:51]
	global_load_dwordx4 v[6:9], v[10:11], off
	global_load_dwordx4 v[2:5], v[12:13], off
	v_mad_u64_u32 v[10:11], s[8:9], s12, v64, 0
	v_mov_b32_e32 v12, v11
	v_mad_u64_u32 v[12:13], s[8:9], s13, v64, v[12:13]
	v_mov_b32_e32 v11, v12
	v_lshl_add_u64 v[18:19], v[10:11], 4, v[50:51]
	v_mad_u64_u32 v[10:11], s[8:9], s12, v63, 0
	v_mov_b32_e32 v12, v11
	v_mad_u64_u32 v[12:13], s[8:9], s13, v63, v[12:13]
	v_mov_b32_e32 v11, v12
	v_lshl_add_u64 v[20:21], v[10:11], 4, v[50:51]
	global_load_dwordx4 v[10:13], v[18:19], off
	global_load_dwordx4 v[14:17], v[20:21], off
	v_mad_u64_u32 v[18:19], s[8:9], s12, v62, 0
	v_mov_b32_e32 v20, v19
	v_mad_u64_u32 v[20:21], s[8:9], s13, v62, v[20:21]
	v_mov_b32_e32 v19, v20
	v_lshl_add_u64 v[26:27], v[18:19], 4, v[50:51]
	v_mad_u64_u32 v[18:19], s[8:9], s12, v61, 0
	;; [unrolled: 12-line block ×5, first 2 shown]
	v_mov_b32_e32 v44, v43
	v_mad_u64_u32 v[44:45], s[8:9], s13, v55, v[44:45]
	v_mov_b32_e32 v43, v44
	v_lshl_add_u64 v[56:57], v[42:43], 4, v[50:51]
	global_load_dwordx4 v[46:49], v[52:53], off
	global_load_dwordx4 v[42:45], v[56:57], off
	v_mad_u64_u32 v[52:53], s[8:9], s12, v54, 0
	v_mov_b32_e32 v56, v53
	v_mad_u64_u32 v[54:55], s[8:9], s13, v54, v[56:57]
	v_mov_b32_e32 v53, v54
	v_lshl_add_u64 v[50:51], v[52:53], 4, v[50:51]
	global_load_dwordx4 v[50:53], v[50:51], off
.LBB0_17:
	s_or_b64 exec, exec, s[6:7]
	s_and_saveexec_b64 s[6:7], s[2:3]
	s_cbranch_execz .LBB0_19
; %bb.18:
	s_mov_b32 s2, 0x4bc48dbf
	s_mov_b32 s28, 0x4267c47c
	s_waitcnt vmcnt(0)
	v_add_f64 v[112:113], v[2:3], -v[50:51]
	s_mov_b32 s3, 0xbfcea1e5
	s_mov_b32 s10, 0x93053d00
	v_add_f64 v[108:109], v[10:11], -v[42:43]
	s_mov_b32 s29, 0x3fddbe06
	s_mov_b32 s26, 0xe00740e9
	v_mul_f64 v[60:61], v[112:113], s[2:3]
	v_add_f64 v[102:103], v[4:5], v[52:53]
	s_mov_b32 s11, 0xbfef11f4
	s_mov_b32 s8, 0x24c2f84
	v_mul_f64 v[58:59], v[108:109], s[28:29]
	v_add_f64 v[94:95], v[12:13], v[44:45]
	s_mov_b32 s27, 0x3fec55a7
	v_fma_f64 v[54:55], s[10:11], v[102:103], v[60:61]
	s_mov_b32 s9, 0xbfe5384d
	s_mov_b32 s18, 0xd0032e0c
	v_add_f64 v[118:119], v[14:15], -v[46:47]
	s_mov_b32 s34, 0x42a4c3d2
	v_add_f64 v[54:55], v[54:55], v[8:9]
	v_fma_f64 v[56:57], s[26:27], v[94:95], v[58:59]
	s_mov_b32 s19, 0xbfe7f3cc
	v_mul_f64 v[62:63], v[118:119], s[8:9]
	v_add_f64 v[96:97], v[48:49], v[16:17]
	s_mov_b32 s35, 0x3fea55e2
	s_mov_b32 s22, 0x1ea71119
	v_add_f64 v[124:125], v[22:23], -v[34:35]
	s_mov_b32 s20, 0x2ef20147
	v_add_f64 v[54:55], v[56:57], v[54:55]
	v_fma_f64 v[56:57], s[18:19], v[96:97], v[62:63]
	s_mov_b32 s23, 0x3fe22d96
	v_mul_f64 v[64:65], v[124:125], s[34:35]
	v_add_f64 v[98:99], v[36:37], v[24:25]
	s_mov_b32 s21, 0xbfedeba7
	s_mov_b32 s24, 0xb2365da1
	v_add_f64 v[126:127], v[18:19], -v[38:39]
	v_add_f64 v[54:55], v[56:57], v[54:55]
	v_fma_f64 v[56:57], s[22:23], v[98:99], v[64:65]
	s_mov_b32 s25, 0xbfd6b1d8
	v_mul_f64 v[66:67], v[126:127], s[20:21]
	v_add_f64 v[100:101], v[40:41], v[20:21]
	v_add_f64 v[128:129], v[2:3], v[50:51]
	;; [unrolled: 1-line block ×3, first 2 shown]
	v_fma_f64 v[56:57], s[24:25], v[100:101], v[66:67]
	s_mov_b32 s43, 0x3fcea1e5
	s_mov_b32 s42, s2
	v_mul_f64 v[68:69], v[128:129], s[10:11]
	v_add_f64 v[116:117], v[4:5], -v[52:53]
	v_add_f64 v[132:133], v[10:11], v[42:43]
	v_add_f64 v[54:55], v[56:57], v[54:55]
	s_mov_b32 s37, 0xbfddbe06
	s_mov_b32 s36, s28
	v_fma_f64 v[56:57], s[42:43], v[116:117], v[68:69]
	v_mul_f64 v[70:71], v[132:133], s[26:27]
	v_add_f64 v[104:105], v[12:13], -v[44:45]
	v_fma_f64 v[60:61], v[102:103], s[10:11], -v[60:61]
	v_add_f64 v[56:57], v[56:57], v[6:7]
	v_fma_f64 v[72:73], s[36:37], v[104:105], v[70:71]
	v_add_f64 v[130:131], v[46:47], v[14:15]
	v_fma_f64 v[58:59], v[94:95], s[26:27], -v[58:59]
	v_add_f64 v[60:61], v[60:61], v[8:9]
	v_add_f64 v[56:57], v[72:73], v[56:57]
	s_mov_b32 s45, 0x3fe5384d
	s_mov_b32 s44, s8
	v_mul_f64 v[72:73], v[130:131], s[18:19]
	v_add_f64 v[106:107], v[16:17], -v[48:49]
	v_add_f64 v[58:59], v[58:59], v[60:61]
	v_fma_f64 v[60:61], v[96:97], s[18:19], -v[62:63]
	v_fma_f64 v[74:75], s[44:45], v[106:107], v[72:73]
	v_add_f64 v[134:135], v[34:35], v[22:23]
	v_add_f64 v[58:59], v[60:61], v[58:59]
	v_fma_f64 v[60:61], v[98:99], s[22:23], -v[64:65]
	v_add_f64 v[56:57], v[74:75], v[56:57]
	s_mov_b32 s31, 0xbfea55e2
	s_mov_b32 s30, s34
	v_mul_f64 v[74:75], v[134:135], s[22:23]
	v_add_f64 v[110:111], v[24:25], -v[36:37]
	v_add_f64 v[58:59], v[60:61], v[58:59]
	v_fma_f64 v[60:61], v[100:101], s[24:25], -v[66:67]
	v_fmac_f64_e32 v[68:69], s[2:3], v[116:117]
	v_fma_f64 v[76:77], s[30:31], v[110:111], v[74:75]
	v_add_f64 v[136:137], v[38:39], v[18:19]
	s_mov_b32 s48, 0x66966769
	v_add_f64 v[58:59], v[60:61], v[58:59]
	v_fmac_f64_e32 v[70:71], s[28:29], v[104:105]
	v_add_f64 v[60:61], v[68:69], v[6:7]
	v_add_f64 v[56:57], v[76:77], v[56:57]
	s_mov_b32 s47, 0x3fedeba7
	s_mov_b32 s46, s20
	v_mul_f64 v[76:77], v[136:137], s[24:25]
	v_add_f64 v[114:115], v[20:21], -v[40:41]
	s_mov_b32 s49, 0x3fefc445
	s_mov_b32 s40, 0xebaa3ed8
	v_add_f64 v[138:139], v[30:31], -v[26:27]
	v_add_f64 v[60:61], v[70:71], v[60:61]
	v_fmac_f64_e32 v[72:73], s[8:9], v[106:107]
	v_fma_f64 v[78:79], s[46:47], v[114:115], v[76:77]
	s_mov_b32 s41, 0x3fbedb7d
	v_mul_f64 v[80:81], v[138:139], s[48:49]
	v_add_f64 v[122:123], v[28:29], v[32:33]
	v_add_f64 v[140:141], v[26:27], v[30:31]
	;; [unrolled: 1-line block ×3, first 2 shown]
	v_fmac_f64_e32 v[74:75], s[34:35], v[110:111]
	v_add_f64 v[78:79], v[78:79], v[56:57]
	v_fma_f64 v[56:57], s[40:41], v[122:123], v[80:81]
	s_mov_b32 s39, 0xbfefc445
	s_mov_b32 s38, s48
	v_mul_f64 v[82:83], v[140:141], s[40:41]
	v_add_f64 v[120:121], v[32:33], -v[28:29]
	v_add_f64 v[60:61], v[74:75], v[60:61]
	v_fmac_f64_e32 v[76:77], s[20:21], v[114:115]
	v_add_f64 v[56:57], v[56:57], v[54:55]
	v_fma_f64 v[54:55], s[38:39], v[120:121], v[82:83]
	v_add_f64 v[62:63], v[76:77], v[60:61]
	v_fma_f64 v[60:61], v[122:123], s[40:41], -v[80:81]
	v_fmac_f64_e32 v[82:83], s[48:49], v[120:121]
	v_mul_f64 v[66:67], v[112:113], s[8:9]
	v_add_f64 v[60:61], v[60:61], v[58:59]
	v_add_f64 v[58:59], v[82:83], v[62:63]
	v_fma_f64 v[62:63], s[18:19], v[102:103], v[66:67]
	v_mul_f64 v[68:69], v[108:109], s[48:49]
	v_add_f64 v[62:63], v[62:63], v[8:9]
	v_fma_f64 v[64:65], s[40:41], v[94:95], v[68:69]
	v_mul_f64 v[70:71], v[118:119], s[30:31]
	v_add_f64 v[62:63], v[64:65], v[62:63]
	v_fma_f64 v[64:65], s[22:23], v[96:97], v[70:71]
	v_mul_f64 v[72:73], v[124:125], s[42:43]
	v_add_f64 v[62:63], v[64:65], v[62:63]
	v_fma_f64 v[64:65], s[10:11], v[98:99], v[72:73]
	v_mul_f64 v[74:75], v[126:127], s[28:29]
	v_add_f64 v[62:63], v[64:65], v[62:63]
	v_fma_f64 v[64:65], s[26:27], v[100:101], v[74:75]
	v_mul_f64 v[76:77], v[128:129], s[18:19]
	v_add_f64 v[54:55], v[54:55], v[78:79]
	v_add_f64 v[62:63], v[64:65], v[62:63]
	v_fma_f64 v[64:65], s[44:45], v[116:117], v[76:77]
	v_mul_f64 v[78:79], v[132:133], s[40:41]
	v_fma_f64 v[66:67], v[102:103], s[18:19], -v[66:67]
	v_add_f64 v[64:65], v[64:65], v[6:7]
	v_fma_f64 v[80:81], s[38:39], v[104:105], v[78:79]
	v_fma_f64 v[68:69], v[94:95], s[40:41], -v[68:69]
	v_add_f64 v[66:67], v[66:67], v[8:9]
	v_add_f64 v[64:65], v[80:81], v[64:65]
	v_mul_f64 v[80:81], v[130:131], s[22:23]
	v_add_f64 v[66:67], v[68:69], v[66:67]
	v_fma_f64 v[68:69], v[96:97], s[22:23], -v[70:71]
	v_fma_f64 v[82:83], s[34:35], v[106:107], v[80:81]
	v_add_f64 v[66:67], v[68:69], v[66:67]
	v_fma_f64 v[68:69], v[98:99], s[10:11], -v[72:73]
	v_add_f64 v[64:65], v[82:83], v[64:65]
	v_mul_f64 v[82:83], v[134:135], s[10:11]
	v_add_f64 v[66:67], v[68:69], v[66:67]
	v_fma_f64 v[68:69], v[100:101], s[26:27], -v[74:75]
	v_fmac_f64_e32 v[76:77], s[8:9], v[116:117]
	v_fma_f64 v[84:85], s[2:3], v[110:111], v[82:83]
	v_add_f64 v[66:67], v[68:69], v[66:67]
	v_fmac_f64_e32 v[78:79], s[48:49], v[104:105]
	v_add_f64 v[68:69], v[76:77], v[6:7]
	v_add_f64 v[64:65], v[84:85], v[64:65]
	v_mul_f64 v[84:85], v[136:137], s[26:27]
	v_add_f64 v[68:69], v[78:79], v[68:69]
	v_fmac_f64_e32 v[80:81], s[30:31], v[106:107]
	v_fma_f64 v[86:87], s[36:37], v[114:115], v[84:85]
	v_mul_f64 v[88:89], v[138:139], s[20:21]
	v_add_f64 v[68:69], v[80:81], v[68:69]
	v_fmac_f64_e32 v[82:83], s[42:43], v[110:111]
	v_add_f64 v[86:87], v[86:87], v[64:65]
	v_fma_f64 v[64:65], s[24:25], v[122:123], v[88:89]
	v_mul_f64 v[144:145], v[140:141], s[24:25]
	v_add_f64 v[68:69], v[82:83], v[68:69]
	v_fmac_f64_e32 v[84:85], s[28:29], v[114:115]
	v_add_f64 v[64:65], v[64:65], v[62:63]
	v_fma_f64 v[62:63], s[46:47], v[120:121], v[144:145]
	v_add_f64 v[70:71], v[84:85], v[68:69]
	v_fma_f64 v[68:69], v[122:123], s[24:25], -v[88:89]
	v_fmac_f64_e32 v[144:145], s[20:21], v[120:121]
	v_mul_f64 v[74:75], v[112:113], s[20:21]
	v_add_f64 v[68:69], v[68:69], v[66:67]
	v_add_f64 v[66:67], v[144:145], v[70:71]
	v_fma_f64 v[70:71], s[24:25], v[102:103], v[74:75]
	v_mul_f64 v[76:77], v[108:109], s[44:45]
	v_add_f64 v[70:71], v[70:71], v[8:9]
	v_fma_f64 v[72:73], s[18:19], v[94:95], v[76:77]
	v_mul_f64 v[78:79], v[118:119], s[28:29]
	v_add_f64 v[70:71], v[72:73], v[70:71]
	v_fma_f64 v[72:73], s[26:27], v[96:97], v[78:79]
	v_mul_f64 v[80:81], v[124:125], s[38:39]
	v_add_f64 v[70:71], v[72:73], v[70:71]
	v_fma_f64 v[72:73], s[40:41], v[98:99], v[80:81]
	v_mul_f64 v[82:83], v[126:127], s[42:43]
	v_add_f64 v[70:71], v[72:73], v[70:71]
	v_fma_f64 v[72:73], s[10:11], v[100:101], v[82:83]
	v_mul_f64 v[84:85], v[128:129], s[24:25]
	v_add_f64 v[62:63], v[62:63], v[86:87]
	v_add_f64 v[70:71], v[72:73], v[70:71]
	v_fma_f64 v[72:73], s[46:47], v[116:117], v[84:85]
	v_mul_f64 v[86:87], v[132:133], s[18:19]
	v_fma_f64 v[74:75], v[102:103], s[24:25], -v[74:75]
	v_add_f64 v[72:73], v[72:73], v[6:7]
	v_fma_f64 v[88:89], s[8:9], v[104:105], v[86:87]
	v_fma_f64 v[76:77], v[94:95], s[18:19], -v[76:77]
	v_add_f64 v[74:75], v[74:75], v[8:9]
	v_add_f64 v[72:73], v[88:89], v[72:73]
	v_mul_f64 v[88:89], v[130:131], s[26:27]
	v_add_f64 v[74:75], v[76:77], v[74:75]
	v_fma_f64 v[76:77], v[96:97], s[26:27], -v[78:79]
	v_fma_f64 v[144:145], s[36:37], v[106:107], v[88:89]
	v_add_f64 v[74:75], v[76:77], v[74:75]
	v_fma_f64 v[76:77], v[98:99], s[40:41], -v[80:81]
	v_add_f64 v[72:73], v[144:145], v[72:73]
	v_mul_f64 v[144:145], v[134:135], s[40:41]
	v_add_f64 v[74:75], v[76:77], v[74:75]
	v_fma_f64 v[76:77], v[100:101], s[10:11], -v[82:83]
	v_fmac_f64_e32 v[84:85], s[20:21], v[116:117]
	v_fma_f64 v[146:147], s[48:49], v[110:111], v[144:145]
	v_add_f64 v[74:75], v[76:77], v[74:75]
	v_fmac_f64_e32 v[86:87], s[44:45], v[104:105]
	v_add_f64 v[76:77], v[84:85], v[6:7]
	v_add_f64 v[72:73], v[146:147], v[72:73]
	v_mul_f64 v[146:147], v[136:137], s[10:11]
	v_add_f64 v[76:77], v[86:87], v[76:77]
	v_fmac_f64_e32 v[88:89], s[28:29], v[106:107]
	v_fma_f64 v[148:149], s[2:3], v[114:115], v[146:147]
	v_mul_f64 v[150:151], v[138:139], s[34:35]
	v_add_f64 v[76:77], v[88:89], v[76:77]
	v_fmac_f64_e32 v[144:145], s[38:39], v[110:111]
	v_add_f64 v[148:149], v[148:149], v[72:73]
	v_fma_f64 v[72:73], s[22:23], v[122:123], v[150:151]
	v_mul_f64 v[152:153], v[140:141], s[22:23]
	;; [unrolled: 60-line block ×4, first 2 shown]
	v_add_f64 v[146:147], v[160:161], v[146:147]
	v_fmac_f64_e32 v[162:163], s[48:49], v[114:115]
	v_add_f64 v[88:89], v[88:89], v[86:87]
	v_fma_f64 v[86:87], s[36:37], v[120:121], v[168:169]
	v_add_f64 v[148:149], v[162:163], v[146:147]
	v_fma_f64 v[146:147], v[122:123], s[26:27], -v[166:167]
	v_fmac_f64_e32 v[168:169], s[28:29], v[120:121]
	v_mul_f64 v[112:113], v[112:113], s[36:37]
	v_add_f64 v[146:147], v[146:147], v[144:145]
	v_add_f64 v[144:145], v[168:169], v[148:149]
	v_mul_f64 v[108:109], v[108:109], s[30:31]
	v_fma_f64 v[148:149], s[26:27], v[102:103], v[112:113]
	v_add_f64 v[148:149], v[148:149], v[8:9]
	v_fma_f64 v[150:151], s[22:23], v[94:95], v[108:109]
	v_mul_f64 v[118:119], v[118:119], s[38:39]
	v_add_f64 v[148:149], v[150:151], v[148:149]
	v_fma_f64 v[150:151], s[40:41], v[96:97], v[118:119]
	v_add_f64 v[148:149], v[150:151], v[148:149]
	v_mul_f64 v[150:151], v[124:125], s[20:21]
	v_fma_f64 v[124:125], s[24:25], v[98:99], v[150:151]
	v_add_f64 v[124:125], v[124:125], v[148:149]
	v_mul_f64 v[148:149], v[126:127], s[8:9]
	v_fma_f64 v[126:127], s[18:19], v[100:101], v[148:149]
	v_mul_f64 v[128:129], v[128:129], s[26:27]
	v_fma_f64 v[102:103], v[102:103], s[26:27], -v[112:113]
	v_add_f64 v[124:125], v[126:127], v[124:125]
	v_mul_f64 v[132:133], v[132:133], s[22:23]
	v_fma_f64 v[126:127], s[28:29], v[116:117], v[128:129]
	v_fmac_f64_e32 v[128:129], s[36:37], v[116:117]
	v_add_f64 v[116:117], v[2:3], v[6:7]
	v_add_f64 v[2:3], v[102:103], v[8:9]
	v_fma_f64 v[94:95], v[94:95], s[22:23], -v[108:109]
	v_add_f64 v[126:127], v[126:127], v[6:7]
	v_fma_f64 v[152:153], s[34:35], v[104:105], v[132:133]
	v_mul_f64 v[130:131], v[130:131], s[40:41]
	v_add_f64 v[112:113], v[4:5], v[8:9]
	v_add_f64 v[4:5], v[128:129], v[6:7]
	v_fma_f64 v[96:97], v[96:97], s[40:41], -v[118:119]
	v_add_f64 v[2:3], v[94:95], v[2:3]
	v_fmac_f64_e32 v[132:133], s[30:31], v[104:105]
	v_add_f64 v[126:127], v[152:153], v[126:127]
	v_fma_f64 v[152:153], s[48:49], v[106:107], v[130:131]
	v_mul_f64 v[134:135], v[134:135], s[24:25]
	v_fma_f64 v[98:99], v[98:99], s[24:25], -v[150:151]
	v_add_f64 v[2:3], v[96:97], v[2:3]
	v_fmac_f64_e32 v[130:131], s[38:39], v[106:107]
	v_add_f64 v[4:5], v[132:133], v[4:5]
	v_add_f64 v[126:127], v[152:153], v[126:127]
	v_fma_f64 v[152:153], s[46:47], v[110:111], v[134:135]
	v_mul_f64 v[136:137], v[136:137], s[18:19]
	v_mul_f64 v[138:139], v[138:139], s[2:3]
	v_fma_f64 v[8:9], v[100:101], s[18:19], -v[148:149]
	v_add_f64 v[2:3], v[98:99], v[2:3]
	v_fmac_f64_e32 v[134:135], s[20:21], v[110:111]
	v_add_f64 v[4:5], v[130:131], v[4:5]
	v_add_f64 v[126:127], v[152:153], v[126:127]
	v_fma_f64 v[152:153], s[44:45], v[114:115], v[136:137]
	v_fma_f64 v[6:7], v[122:123], s[10:11], -v[138:139]
	v_add_f64 v[2:3], v[8:9], v[2:3]
	v_fmac_f64_e32 v[136:137], s[8:9], v[114:115]
	v_add_f64 v[4:5], v[134:135], v[4:5]
	v_add_f64 v[152:153], v[152:153], v[126:127]
	v_fma_f64 v[126:127], s[10:11], v[122:123], v[138:139]
	v_mul_f64 v[140:141], v[140:141], s[10:11]
	v_add_f64 v[8:9], v[136:137], v[4:5]
	v_add_f64 v[4:5], v[6:7], v[2:3]
	;; [unrolled: 1-line block ×4, first 2 shown]
	v_fma_f64 v[124:125], s[42:43], v[120:121], v[140:141]
	v_fmac_f64_e32 v[140:141], s[2:3], v[120:121]
	v_add_f64 v[6:7], v[16:17], v[6:7]
	v_add_f64 v[2:3], v[140:141], v[8:9]
	;; [unrolled: 1-line block ×21, first 2 shown]
	v_mul_u32_u24_e32 v10, 0xd00, v142
	v_lshlrev_b32_e32 v11, 4, v1
	v_add_f64 v[6:7], v[50:51], v[6:7]
	v_add3_u32 v10, 0, v10, v11
	v_add_f64 v[86:87], v[86:87], v[164:165]
	v_add_f64 v[124:125], v[124:125], v[152:153]
	ds_write_b128 v10, v[6:9]
	ds_write_b128 v10, v[2:5] offset:256
	ds_write_b128 v10, v[144:147] offset:512
	;; [unrolled: 1-line block ×12, first 2 shown]
.LBB0_19:
	s_or_b64 exec, exec, s[6:7]
	s_or_b64 s[0:1], vcc, s[0:1]
	s_waitcnt lgkmcnt(0)
	s_barrier
	s_and_saveexec_b64 s[2:3], s[0:1]
	s_cbranch_execz .LBB0_21
; %bb.20:
	s_mov_b32 s0, 0x13b13b14
	s_waitcnt vmcnt(11)
	v_mul_hi_u32 v2, v142, s0
	v_mul_u32_u24_e32 v2, 13, v2
	v_sub_u32_e32 v56, v142, v2
	v_mul_u32_u24_e32 v2, 3, v56
	s_waitcnt vmcnt(9)
	v_lshlrev_b32_e32 v14, 4, v2
	global_load_dwordx4 v[2:5], v14, s[16:17] offset:16
	global_load_dwordx4 v[6:9], v14, s[16:17]
	global_load_dwordx4 v[10:13], v14, s[16:17] offset:32
	s_waitcnt vmcnt(9)
	v_add_u32_e32 v31, 39, v56
	v_mul_lo_u32 v30, v92, -13
	v_mul_lo_u32 v31, v31, v92
	v_lshrrev_b32_e32 v32, 8, v31
	v_and_b32_e32 v33, 63, v31
	s_waitcnt vmcnt(6)
	v_lshrrev_b32_e32 v34, 2, v31
	v_add_u32_e32 v31, v31, v30
	v_lshlrev_b32_e32 v14, 8, v142
	v_lshlrev_b32_e32 v15, 4, v1
	s_add_i32 s0, 0, 0x3400
	v_and_b32_e32 v32, 0x3f0, v32
	v_lshl_add_u32 v35, v33, 4, 0
	v_and_b32_e32 v33, 0x3f0, v34
	v_lshrrev_b32_e32 v34, 8, v31
	v_lshrrev_b32_e32 v37, 2, v31
	v_add3_u32 v26, 0, v14, v15
	v_and_b32_e32 v36, 63, v31
	v_add_u32_e32 v57, v31, v30
	v_add_u32_e32 v30, s0, v32
	;; [unrolled: 1-line block ×3, first 2 shown]
	v_and_b32_e32 v39, 0x3f0, v34
	s_waitcnt vmcnt(4)
	v_and_b32_e32 v42, 0x3f0, v37
	ds_read_b128 v[14:17], v26
	ds_read_b128 v[18:21], v26 offset:3328
	ds_read_b128 v[22:25], v26 offset:6656
	;; [unrolled: 1-line block ×3, first 2 shown]
	v_lshl_add_u32 v46, v36, 4, 0
	ds_read_b128 v[30:33], v30 offset:2048
	ds_read_b128 v[34:37], v35 offset:13312
	v_add_u32_e32 v43, s0, v39
	ds_read_b128 v[38:41], v38 offset:1024
	s_waitcnt vmcnt(3)
	v_add_u32_e32 v50, s0, v42
	ds_read_b128 v[42:45], v43 offset:2048
	ds_read_b128 v[46:49], v46 offset:13312
	;; [unrolled: 1-line block ×3, first 2 shown]
	s_waitcnt lgkmcnt(3)
	v_mul_f64 v[54:55], v[36:37], v[40:41]
	v_mul_f64 v[40:41], v[34:35], v[40:41]
	v_fma_f64 v[34:35], v[34:35], v[38:39], -v[54:55]
	v_fmac_f64_e32 v[40:41], v[36:37], v[38:39]
	s_waitcnt lgkmcnt(0)
	v_mul_f64 v[36:37], v[48:49], v[52:53]
	v_mul_f64 v[38:39], v[46:47], v[52:53]
	;; [unrolled: 1-line block ×4, first 2 shown]
	v_fma_f64 v[36:37], v[46:47], v[50:51], -v[36:37]
	v_fmac_f64_e32 v[38:39], v[48:49], v[50:51]
	v_fma_f64 v[34:35], v[30:31], v[34:35], -v[52:53]
	v_fmac_f64_e32 v[32:33], v[30:31], v[40:41]
	v_mul_f64 v[30:31], v[38:39], v[44:45]
	v_mul_f64 v[40:41], v[36:37], v[44:45]
	v_fma_f64 v[30:31], v[42:43], v[36:37], -v[30:31]
	v_fmac_f64_e32 v[40:41], v[42:43], v[38:39]
	s_waitcnt vmcnt(2)
	v_mul_f64 v[36:37], v[22:23], v[4:5]
	s_waitcnt vmcnt(1)
	v_mul_f64 v[38:39], v[20:21], v[8:9]
	;; [unrolled: 2-line block ×3, first 2 shown]
	v_mul_f64 v[4:5], v[24:25], v[4:5]
	v_mul_f64 v[8:9], v[18:19], v[8:9]
	v_mul_f64 v[12:13], v[26:27], v[12:13]
	v_fma_f64 v[24:25], v[24:25], v[2:3], -v[36:37]
	v_fmac_f64_e32 v[38:39], v[18:19], v[6:7]
	v_fmac_f64_e32 v[42:43], v[26:27], v[10:11]
	;; [unrolled: 1-line block ×3, first 2 shown]
	v_fma_f64 v[2:3], v[20:21], v[6:7], -v[8:9]
	v_fma_f64 v[6:7], v[28:29], v[10:11], -v[12:13]
	v_add_f64 v[8:9], v[16:17], -v[24:25]
	v_add_f64 v[10:11], v[38:39], -v[42:43]
	;; [unrolled: 1-line block ×5, first 2 shown]
	v_fma_f64 v[42:43], v[14:15], 2.0, -v[26:27]
	v_fma_f64 v[10:11], v[38:39], 2.0, -v[10:11]
	v_add_f64 v[38:39], v[42:43], -v[10:11]
	v_lshrrev_b32_e32 v10, 8, v57
	v_lshrrev_b32_e32 v18, 2, v57
	v_add_f64 v[28:29], v[26:27], v[4:5]
	v_and_b32_e32 v10, 0x3f0, v10
	v_and_b32_e32 v11, 63, v57
	;; [unrolled: 1-line block ×3, first 2 shown]
	v_fma_f64 v[36:37], v[16:17], 2.0, -v[8:9]
	v_fma_f64 v[4:5], v[2:3], 2.0, -v[4:5]
	v_mul_f64 v[12:13], v[28:29], v[32:33]
	v_add_u32_e32 v10, s0, v10
	v_lshl_add_u32 v14, v11, 4, 0
	v_add_u32_e32 v18, s0, v18
	v_mul_f64 v[2:3], v[6:7], v[32:33]
	v_add_f64 v[32:33], v[36:37], -v[4:5]
	v_fma_f64 v[4:5], v[6:7], v[34:35], -v[12:13]
	ds_read_b128 v[10:13], v10 offset:2048
	ds_read_b128 v[14:17], v14 offset:13312
	;; [unrolled: 1-line block ×3, first 2 shown]
	v_fma_f64 v[44:45], v[8:9], 2.0, -v[6:7]
	v_mul_f64 v[8:9], v[38:39], v[40:41]
	v_mul_f64 v[6:7], v[32:33], v[40:41]
	v_mul_lo_u32 v40, v56, v92
	v_lshrrev_b32_e32 v22, 8, v40
	v_and_b32_e32 v22, 0x3f0, v22
	v_add_u32_e32 v22, s0, v22
	ds_read_b128 v[22:25], v22 offset:2048
	v_fma_f64 v[8:9], v[32:33], v[30:31], -v[8:9]
	v_fmac_f64_e32 v[6:7], v[38:39], v[30:31]
	s_waitcnt lgkmcnt(1)
	v_mul_f64 v[30:31], v[16:17], v[20:21]
	v_fma_f64 v[30:31], v[14:15], v[18:19], -v[30:31]
	v_mul_f64 v[14:15], v[14:15], v[20:21]
	v_fmac_f64_e32 v[14:15], v[16:17], v[18:19]
	v_mul_f64 v[16:17], v[14:15], v[12:13]
	v_mul_f64 v[18:19], v[30:31], v[12:13]
	v_fmac_f64_e32 v[2:3], v[28:29], v[34:35]
	v_fma_f64 v[34:35], v[10:11], v[30:31], -v[16:17]
	v_fmac_f64_e32 v[18:19], v[10:11], v[14:15]
	v_lshrrev_b32_e32 v11, 2, v40
	v_and_b32_e32 v10, 63, v40
	v_and_b32_e32 v11, 0x3f0, v11
	v_lshl_add_u32 v10, v10, 4, 0
	v_add_u32_e32 v14, s0, v11
	ds_read_b128 v[10:13], v10 offset:13312
	ds_read_b128 v[14:17], v14 offset:1024
	v_fma_f64 v[26:27], v[26:27], 2.0, -v[28:29]
	v_mul_f64 v[20:21], v[26:27], v[18:19]
	v_mul_f64 v[18:19], v[44:45], v[18:19]
	v_fmac_f64_e32 v[18:19], v[26:27], v[34:35]
	s_waitcnt lgkmcnt(0)
	v_mul_f64 v[28:29], v[12:13], v[16:17]
	v_fma_f64 v[28:29], v[10:11], v[14:15], -v[28:29]
	v_mul_f64 v[10:11], v[10:11], v[16:17]
	v_fmac_f64_e32 v[10:11], v[12:13], v[14:15]
	v_mul_f64 v[12:13], v[10:11], v[24:25]
	v_mul_f64 v[24:25], v[28:29], v[24:25]
	v_fma_f64 v[16:17], v[42:43], 2.0, -v[38:39]
	v_fmac_f64_e32 v[24:25], v[22:23], v[10:11]
	v_fma_f64 v[26:27], v[36:37], 2.0, -v[32:33]
	v_fma_f64 v[14:15], v[22:23], v[28:29], -v[12:13]
	v_mul_f64 v[10:11], v[16:17], v[24:25]
	v_fma_f64 v[12:13], v[26:27], v[14:15], -v[10:11]
	v_mul_f64 v[10:11], v[26:27], v[24:25]
	v_fmac_f64_e32 v[10:11], v[16:17], v[14:15]
	v_mad_u64_u32 v[14:15], s[0:1], s14, v1, 0
	v_mov_b32_e32 v16, v15
	v_mad_u64_u32 v[16:17], s[0:1], s15, v1, v[16:17]
	s_mov_b32 s0, 0x13b13b2
	s_nop 0
	v_mul_hi_u32 v0, v0, s0
	v_mad_u32_u24 v22, v0, 52, v56
	v_mad_u64_u32 v[0:1], s[0:1], s12, v22, 0
	v_mov_b32_e32 v15, v16
	v_mov_b32_e32 v16, v1
	v_mad_u64_u32 v[16:17], s[0:1], s13, v22, v[16:17]
	v_mov_b32_e32 v1, v16
	v_lshl_add_u64 v[16:17], s[4:5], 0, v[90:91]
	v_lshl_add_u64 v[14:15], v[14:15], 4, v[16:17]
	;; [unrolled: 1-line block ×3, first 2 shown]
	global_store_dwordx4 v[0:1], v[10:13], off
	v_fma_f64 v[20:21], v[44:45], v[34:35], -v[20:21]
	s_nop 0
	v_add_u32_e32 v11, 13, v22
	v_mad_u64_u32 v[0:1], s[0:1], s12, v11, 0
	v_mov_b32_e32 v10, v1
	v_mad_u64_u32 v[10:11], s[0:1], s13, v11, v[10:11]
	v_mov_b32_e32 v1, v10
	v_lshl_add_u64 v[0:1], v[0:1], 4, v[14:15]
	v_add_u32_e32 v11, 26, v22
	global_store_dwordx4 v[0:1], v[18:21], off
	v_mad_u64_u32 v[0:1], s[0:1], s12, v11, 0
	v_mov_b32_e32 v10, v1
	v_mad_u64_u32 v[10:11], s[0:1], s13, v11, v[10:11]
	v_mov_b32_e32 v1, v10
	v_lshl_add_u64 v[0:1], v[0:1], 4, v[14:15]
	global_store_dwordx4 v[0:1], v[6:9], off
	s_nop 1
	v_add_u32_e32 v7, 39, v22
	v_mad_u64_u32 v[0:1], s[0:1], s12, v7, 0
	v_mov_b32_e32 v6, v1
	v_mad_u64_u32 v[6:7], s[0:1], s13, v7, v[6:7]
	v_mov_b32_e32 v1, v6
	v_lshl_add_u64 v[0:1], v[0:1], 4, v[14:15]
	global_store_dwordx4 v[0:1], v[2:5], off
.LBB0_21:
	s_endpgm
	.section	.rodata,"a",@progbits
	.p2align	6, 0x0
	.amdhsa_kernel fft_rtc_back_len52_factors_13_4_wgs_208_tpt_13_dp_ip_CI_sbcc_twdbase6_3step_dirReg
		.amdhsa_group_segment_fixed_size 0
		.amdhsa_private_segment_fixed_size 0
		.amdhsa_kernarg_size 96
		.amdhsa_user_sgpr_count 2
		.amdhsa_user_sgpr_dispatch_ptr 0
		.amdhsa_user_sgpr_queue_ptr 0
		.amdhsa_user_sgpr_kernarg_segment_ptr 1
		.amdhsa_user_sgpr_dispatch_id 0
		.amdhsa_user_sgpr_kernarg_preload_length 0
		.amdhsa_user_sgpr_kernarg_preload_offset 0
		.amdhsa_user_sgpr_private_segment_size 0
		.amdhsa_uses_dynamic_stack 0
		.amdhsa_enable_private_segment 0
		.amdhsa_system_sgpr_workgroup_id_x 1
		.amdhsa_system_sgpr_workgroup_id_y 0
		.amdhsa_system_sgpr_workgroup_id_z 0
		.amdhsa_system_sgpr_workgroup_info 0
		.amdhsa_system_vgpr_workitem_id 0
		.amdhsa_next_free_vgpr 170
		.amdhsa_next_free_sgpr 50
		.amdhsa_accum_offset 172
		.amdhsa_reserve_vcc 1
		.amdhsa_float_round_mode_32 0
		.amdhsa_float_round_mode_16_64 0
		.amdhsa_float_denorm_mode_32 3
		.amdhsa_float_denorm_mode_16_64 3
		.amdhsa_dx10_clamp 1
		.amdhsa_ieee_mode 1
		.amdhsa_fp16_overflow 0
		.amdhsa_tg_split 0
		.amdhsa_exception_fp_ieee_invalid_op 0
		.amdhsa_exception_fp_denorm_src 0
		.amdhsa_exception_fp_ieee_div_zero 0
		.amdhsa_exception_fp_ieee_overflow 0
		.amdhsa_exception_fp_ieee_underflow 0
		.amdhsa_exception_fp_ieee_inexact 0
		.amdhsa_exception_int_div_zero 0
	.end_amdhsa_kernel
	.text
.Lfunc_end0:
	.size	fft_rtc_back_len52_factors_13_4_wgs_208_tpt_13_dp_ip_CI_sbcc_twdbase6_3step_dirReg, .Lfunc_end0-fft_rtc_back_len52_factors_13_4_wgs_208_tpt_13_dp_ip_CI_sbcc_twdbase6_3step_dirReg
                                        ; -- End function
	.section	.AMDGPU.csdata,"",@progbits
; Kernel info:
; codeLenInByte = 7372
; NumSgprs: 56
; NumVgprs: 170
; NumAgprs: 0
; TotalNumVgprs: 170
; ScratchSize: 0
; MemoryBound: 1
; FloatMode: 240
; IeeeMode: 1
; LDSByteSize: 0 bytes/workgroup (compile time only)
; SGPRBlocks: 6
; VGPRBlocks: 21
; NumSGPRsForWavesPerEU: 56
; NumVGPRsForWavesPerEU: 170
; AccumOffset: 172
; Occupancy: 2
; WaveLimiterHint : 1
; COMPUTE_PGM_RSRC2:SCRATCH_EN: 0
; COMPUTE_PGM_RSRC2:USER_SGPR: 2
; COMPUTE_PGM_RSRC2:TRAP_HANDLER: 0
; COMPUTE_PGM_RSRC2:TGID_X_EN: 1
; COMPUTE_PGM_RSRC2:TGID_Y_EN: 0
; COMPUTE_PGM_RSRC2:TGID_Z_EN: 0
; COMPUTE_PGM_RSRC2:TIDIG_COMP_CNT: 0
; COMPUTE_PGM_RSRC3_GFX90A:ACCUM_OFFSET: 42
; COMPUTE_PGM_RSRC3_GFX90A:TG_SPLIT: 0
	.text
	.p2alignl 6, 3212836864
	.fill 256, 4, 3212836864
	.type	__hip_cuid_145f254bb8655769,@object ; @__hip_cuid_145f254bb8655769
	.section	.bss,"aw",@nobits
	.globl	__hip_cuid_145f254bb8655769
__hip_cuid_145f254bb8655769:
	.byte	0                               ; 0x0
	.size	__hip_cuid_145f254bb8655769, 1

	.ident	"AMD clang version 19.0.0git (https://github.com/RadeonOpenCompute/llvm-project roc-6.4.0 25133 c7fe45cf4b819c5991fe208aaa96edf142730f1d)"
	.section	".note.GNU-stack","",@progbits
	.addrsig
	.addrsig_sym __hip_cuid_145f254bb8655769
	.amdgpu_metadata
---
amdhsa.kernels:
  - .agpr_count:     0
    .args:
      - .actual_access:  read_only
        .address_space:  global
        .offset:         0
        .size:           8
        .value_kind:     global_buffer
      - .address_space:  global
        .offset:         8
        .size:           8
        .value_kind:     global_buffer
      - .offset:         16
        .size:           8
        .value_kind:     by_value
      - .actual_access:  read_only
        .address_space:  global
        .offset:         24
        .size:           8
        .value_kind:     global_buffer
      - .actual_access:  read_only
        .address_space:  global
        .offset:         32
        .size:           8
        .value_kind:     global_buffer
      - .offset:         40
        .size:           8
        .value_kind:     by_value
      - .actual_access:  read_only
        .address_space:  global
        .offset:         48
        .size:           8
        .value_kind:     global_buffer
      - .actual_access:  read_only
        .address_space:  global
        .offset:         56
        .size:           8
        .value_kind:     global_buffer
      - .offset:         64
        .size:           4
        .value_kind:     by_value
      - .actual_access:  read_only
        .address_space:  global
        .offset:         72
        .size:           8
        .value_kind:     global_buffer
      - .actual_access:  read_only
        .address_space:  global
        .offset:         80
        .size:           8
        .value_kind:     global_buffer
      - .address_space:  global
        .offset:         88
        .size:           8
        .value_kind:     global_buffer
    .group_segment_fixed_size: 0
    .kernarg_segment_align: 8
    .kernarg_segment_size: 96
    .language:       OpenCL C
    .language_version:
      - 2
      - 0
    .max_flat_workgroup_size: 208
    .name:           fft_rtc_back_len52_factors_13_4_wgs_208_tpt_13_dp_ip_CI_sbcc_twdbase6_3step_dirReg
    .private_segment_fixed_size: 0
    .sgpr_count:     56
    .sgpr_spill_count: 0
    .symbol:         fft_rtc_back_len52_factors_13_4_wgs_208_tpt_13_dp_ip_CI_sbcc_twdbase6_3step_dirReg.kd
    .uniform_work_group_size: 1
    .uses_dynamic_stack: false
    .vgpr_count:     170
    .vgpr_spill_count: 0
    .wavefront_size: 64
amdhsa.target:   amdgcn-amd-amdhsa--gfx950
amdhsa.version:
  - 1
  - 2
...

	.end_amdgpu_metadata
